;; amdgpu-corpus repo=ROCm/rocFFT kind=compiled arch=gfx1030 opt=O3
	.text
	.amdgcn_target "amdgcn-amd-amdhsa--gfx1030"
	.amdhsa_code_object_version 6
	.protected	fft_rtc_fwd_len1280_factors_16_5_16_wgs_80_tpt_80_halfLds_sp_op_CI_CI_sbrr_dirReg ; -- Begin function fft_rtc_fwd_len1280_factors_16_5_16_wgs_80_tpt_80_halfLds_sp_op_CI_CI_sbrr_dirReg
	.globl	fft_rtc_fwd_len1280_factors_16_5_16_wgs_80_tpt_80_halfLds_sp_op_CI_CI_sbrr_dirReg
	.p2align	8
	.type	fft_rtc_fwd_len1280_factors_16_5_16_wgs_80_tpt_80_halfLds_sp_op_CI_CI_sbrr_dirReg,@function
fft_rtc_fwd_len1280_factors_16_5_16_wgs_80_tpt_80_halfLds_sp_op_CI_CI_sbrr_dirReg: ; @fft_rtc_fwd_len1280_factors_16_5_16_wgs_80_tpt_80_halfLds_sp_op_CI_CI_sbrr_dirReg
; %bb.0:
	s_clause 0x2
	s_load_dwordx4 s[16:19], s[4:5], 0x18
	s_load_dwordx4 s[12:15], s[4:5], 0x0
	;; [unrolled: 1-line block ×3, first 2 shown]
	v_mul_u32_u24_e32 v2, 0x334, v0
	v_mov_b32_e32 v1, 0
	v_mov_b32_e32 v3, 0
	;; [unrolled: 1-line block ×3, first 2 shown]
	s_waitcnt lgkmcnt(0)
	s_load_dwordx2 s[20:21], s[16:17], 0x0
	s_load_dwordx2 s[2:3], s[18:19], 0x0
	v_cmp_lt_u64_e64 s0, s[14:15], 2
	v_add_nc_u32_sdwa v5, s6, v2 dst_sel:DWORD dst_unused:UNUSED_PAD src0_sel:DWORD src1_sel:WORD_1
	v_mov_b32_e32 v6, v1
	s_and_b32 vcc_lo, exec_lo, s0
	s_cbranch_vccnz .LBB0_8
; %bb.1:
	s_load_dwordx2 s[0:1], s[4:5], 0x10
	v_mov_b32_e32 v3, 0
	v_mov_b32_e32 v4, 0
	s_add_u32 s6, s18, 8
	s_addc_u32 s7, s19, 0
	s_add_u32 s22, s16, 8
	s_addc_u32 s23, s17, 0
	v_mov_b32_e32 v29, v4
	v_mov_b32_e32 v28, v3
	s_mov_b64 s[26:27], 1
	s_waitcnt lgkmcnt(0)
	s_add_u32 s24, s0, 8
	s_addc_u32 s25, s1, 0
.LBB0_2:                                ; =>This Inner Loop Header: Depth=1
	s_load_dwordx2 s[28:29], s[24:25], 0x0
                                        ; implicit-def: $vgpr30_vgpr31
	s_mov_b32 s0, exec_lo
	s_waitcnt lgkmcnt(0)
	v_or_b32_e32 v2, s29, v6
	v_cmpx_ne_u64_e32 0, v[1:2]
	s_xor_b32 s1, exec_lo, s0
	s_cbranch_execz .LBB0_4
; %bb.3:                                ;   in Loop: Header=BB0_2 Depth=1
	v_cvt_f32_u32_e32 v2, s28
	v_cvt_f32_u32_e32 v7, s29
	s_sub_u32 s0, 0, s28
	s_subb_u32 s30, 0, s29
	v_fmac_f32_e32 v2, 0x4f800000, v7
	v_rcp_f32_e32 v2, v2
	v_mul_f32_e32 v2, 0x5f7ffffc, v2
	v_mul_f32_e32 v7, 0x2f800000, v2
	v_trunc_f32_e32 v7, v7
	v_fmac_f32_e32 v2, 0xcf800000, v7
	v_cvt_u32_f32_e32 v7, v7
	v_cvt_u32_f32_e32 v2, v2
	v_mul_lo_u32 v8, s0, v7
	v_mul_hi_u32 v9, s0, v2
	v_mul_lo_u32 v10, s30, v2
	v_add_nc_u32_e32 v8, v9, v8
	v_mul_lo_u32 v9, s0, v2
	v_add_nc_u32_e32 v8, v8, v10
	v_mul_hi_u32 v10, v2, v9
	v_mul_lo_u32 v11, v2, v8
	v_mul_hi_u32 v12, v2, v8
	v_mul_hi_u32 v13, v7, v9
	v_mul_lo_u32 v9, v7, v9
	v_mul_hi_u32 v14, v7, v8
	v_mul_lo_u32 v8, v7, v8
	v_add_co_u32 v10, vcc_lo, v10, v11
	v_add_co_ci_u32_e32 v11, vcc_lo, 0, v12, vcc_lo
	v_add_co_u32 v9, vcc_lo, v10, v9
	v_add_co_ci_u32_e32 v9, vcc_lo, v11, v13, vcc_lo
	v_add_co_ci_u32_e32 v10, vcc_lo, 0, v14, vcc_lo
	v_add_co_u32 v8, vcc_lo, v9, v8
	v_add_co_ci_u32_e32 v9, vcc_lo, 0, v10, vcc_lo
	v_add_co_u32 v2, vcc_lo, v2, v8
	v_add_co_ci_u32_e32 v7, vcc_lo, v7, v9, vcc_lo
	v_mul_hi_u32 v8, s0, v2
	v_mul_lo_u32 v10, s30, v2
	v_mul_lo_u32 v9, s0, v7
	v_add_nc_u32_e32 v8, v8, v9
	v_mul_lo_u32 v9, s0, v2
	v_add_nc_u32_e32 v8, v8, v10
	v_mul_hi_u32 v10, v2, v9
	v_mul_lo_u32 v11, v2, v8
	v_mul_hi_u32 v12, v2, v8
	v_mul_hi_u32 v13, v7, v9
	v_mul_lo_u32 v9, v7, v9
	v_mul_hi_u32 v14, v7, v8
	v_mul_lo_u32 v8, v7, v8
	v_add_co_u32 v10, vcc_lo, v10, v11
	v_add_co_ci_u32_e32 v11, vcc_lo, 0, v12, vcc_lo
	v_add_co_u32 v9, vcc_lo, v10, v9
	v_add_co_ci_u32_e32 v9, vcc_lo, v11, v13, vcc_lo
	v_add_co_ci_u32_e32 v10, vcc_lo, 0, v14, vcc_lo
	v_add_co_u32 v8, vcc_lo, v9, v8
	v_add_co_ci_u32_e32 v9, vcc_lo, 0, v10, vcc_lo
	v_add_co_u32 v2, vcc_lo, v2, v8
	v_add_co_ci_u32_e32 v11, vcc_lo, v7, v9, vcc_lo
	v_mul_hi_u32 v13, v5, v2
	v_mad_u64_u32 v[9:10], null, v6, v2, 0
	v_mad_u64_u32 v[7:8], null, v5, v11, 0
	v_mad_u64_u32 v[11:12], null, v6, v11, 0
	v_add_co_u32 v2, vcc_lo, v13, v7
	v_add_co_ci_u32_e32 v7, vcc_lo, 0, v8, vcc_lo
	v_add_co_u32 v2, vcc_lo, v2, v9
	v_add_co_ci_u32_e32 v2, vcc_lo, v7, v10, vcc_lo
	v_add_co_ci_u32_e32 v7, vcc_lo, 0, v12, vcc_lo
	v_add_co_u32 v2, vcc_lo, v2, v11
	v_add_co_ci_u32_e32 v9, vcc_lo, 0, v7, vcc_lo
	v_mul_lo_u32 v10, s29, v2
	v_mad_u64_u32 v[7:8], null, s28, v2, 0
	v_mul_lo_u32 v11, s28, v9
	v_sub_co_u32 v7, vcc_lo, v5, v7
	v_add3_u32 v8, v8, v11, v10
	v_sub_nc_u32_e32 v10, v6, v8
	v_subrev_co_ci_u32_e64 v10, s0, s29, v10, vcc_lo
	v_add_co_u32 v11, s0, v2, 2
	v_add_co_ci_u32_e64 v12, s0, 0, v9, s0
	v_sub_co_u32 v13, s0, v7, s28
	v_sub_co_ci_u32_e32 v8, vcc_lo, v6, v8, vcc_lo
	v_subrev_co_ci_u32_e64 v10, s0, 0, v10, s0
	v_cmp_le_u32_e32 vcc_lo, s28, v13
	v_cmp_eq_u32_e64 s0, s29, v8
	v_cndmask_b32_e64 v13, 0, -1, vcc_lo
	v_cmp_le_u32_e32 vcc_lo, s29, v10
	v_cndmask_b32_e64 v14, 0, -1, vcc_lo
	v_cmp_le_u32_e32 vcc_lo, s28, v7
	;; [unrolled: 2-line block ×3, first 2 shown]
	v_cndmask_b32_e64 v15, 0, -1, vcc_lo
	v_cmp_eq_u32_e32 vcc_lo, s29, v10
	v_cndmask_b32_e64 v7, v15, v7, s0
	v_cndmask_b32_e32 v10, v14, v13, vcc_lo
	v_add_co_u32 v13, vcc_lo, v2, 1
	v_add_co_ci_u32_e32 v14, vcc_lo, 0, v9, vcc_lo
	v_cmp_ne_u32_e32 vcc_lo, 0, v10
	v_cndmask_b32_e32 v8, v14, v12, vcc_lo
	v_cndmask_b32_e32 v10, v13, v11, vcc_lo
	v_cmp_ne_u32_e32 vcc_lo, 0, v7
	v_cndmask_b32_e32 v31, v9, v8, vcc_lo
	v_cndmask_b32_e32 v30, v2, v10, vcc_lo
.LBB0_4:                                ;   in Loop: Header=BB0_2 Depth=1
	s_andn2_saveexec_b32 s0, s1
	s_cbranch_execz .LBB0_6
; %bb.5:                                ;   in Loop: Header=BB0_2 Depth=1
	v_cvt_f32_u32_e32 v2, s28
	s_sub_i32 s1, 0, s28
	v_mov_b32_e32 v31, v1
	v_rcp_iflag_f32_e32 v2, v2
	v_mul_f32_e32 v2, 0x4f7ffffe, v2
	v_cvt_u32_f32_e32 v2, v2
	v_mul_lo_u32 v7, s1, v2
	v_mul_hi_u32 v7, v2, v7
	v_add_nc_u32_e32 v2, v2, v7
	v_mul_hi_u32 v2, v5, v2
	v_mul_lo_u32 v7, v2, s28
	v_add_nc_u32_e32 v8, 1, v2
	v_sub_nc_u32_e32 v7, v5, v7
	v_subrev_nc_u32_e32 v9, s28, v7
	v_cmp_le_u32_e32 vcc_lo, s28, v7
	v_cndmask_b32_e32 v7, v7, v9, vcc_lo
	v_cndmask_b32_e32 v2, v2, v8, vcc_lo
	v_cmp_le_u32_e32 vcc_lo, s28, v7
	v_add_nc_u32_e32 v8, 1, v2
	v_cndmask_b32_e32 v30, v2, v8, vcc_lo
.LBB0_6:                                ;   in Loop: Header=BB0_2 Depth=1
	s_or_b32 exec_lo, exec_lo, s0
	v_mul_lo_u32 v2, v31, s28
	v_mul_lo_u32 v9, v30, s29
	s_load_dwordx2 s[0:1], s[22:23], 0x0
	v_mad_u64_u32 v[7:8], null, v30, s28, 0
	s_load_dwordx2 s[28:29], s[6:7], 0x0
	s_add_u32 s26, s26, 1
	s_addc_u32 s27, s27, 0
	s_add_u32 s6, s6, 8
	s_addc_u32 s7, s7, 0
	s_add_u32 s22, s22, 8
	v_add3_u32 v2, v8, v9, v2
	v_sub_co_u32 v5, vcc_lo, v5, v7
	s_addc_u32 s23, s23, 0
	s_add_u32 s24, s24, 8
	v_sub_co_ci_u32_e32 v2, vcc_lo, v6, v2, vcc_lo
	s_addc_u32 s25, s25, 0
	s_waitcnt lgkmcnt(0)
	v_mul_lo_u32 v6, s0, v2
	v_mul_lo_u32 v7, s1, v5
	v_mad_u64_u32 v[3:4], null, s0, v5, v[3:4]
	v_mul_lo_u32 v2, s28, v2
	v_mul_lo_u32 v8, s29, v5
	v_mad_u64_u32 v[28:29], null, s28, v5, v[28:29]
	v_cmp_ge_u64_e64 s0, s[26:27], s[14:15]
	v_add3_u32 v4, v7, v4, v6
	v_add3_u32 v29, v8, v29, v2
	s_and_b32 vcc_lo, exec_lo, s0
	s_cbranch_vccnz .LBB0_9
; %bb.7:                                ;   in Loop: Header=BB0_2 Depth=1
	v_mov_b32_e32 v5, v30
	v_mov_b32_e32 v6, v31
	s_branch .LBB0_2
.LBB0_8:
	v_mov_b32_e32 v29, v4
	v_mov_b32_e32 v31, v6
	;; [unrolled: 1-line block ×4, first 2 shown]
.LBB0_9:
	s_load_dwordx2 s[0:1], s[4:5], 0x28
	v_mul_hi_u32 v17, 0x3333334, v0
	s_lshl_b64 s[6:7], s[14:15], 3
                                        ; implicit-def: $sgpr14_sgpr15
                                        ; implicit-def: $vgpr44
                                        ; implicit-def: $vgpr45
                                        ; implicit-def: $vgpr51
                                        ; implicit-def: $vgpr19
	s_add_u32 s4, s18, s6
	s_addc_u32 s5, s19, s7
                                        ; implicit-def: $sgpr18
	s_waitcnt lgkmcnt(0)
	v_cmp_gt_u64_e32 vcc_lo, s[0:1], v[30:31]
	v_cmp_le_u64_e64 s0, s[0:1], v[30:31]
	s_and_saveexec_b32 s1, s0
	s_xor_b32 s0, exec_lo, s1
; %bb.10:
	v_mul_u32_u24_e32 v1, 0x50, v17
	s_mov_b32 s18, 0
	s_mov_b64 s[14:15], 0
                                        ; implicit-def: $vgpr17
                                        ; implicit-def: $vgpr3_vgpr4
	v_sub_nc_u32_e32 v44, v0, v1
                                        ; implicit-def: $vgpr0
	v_add_nc_u32_e32 v45, 0x50, v44
	v_add_nc_u32_e32 v51, 0xa0, v44
	;; [unrolled: 1-line block ×3, first 2 shown]
; %bb.11:
	s_or_saveexec_b32 s1, s0
	v_mov_b32_e32 v1, s14
	v_mov_b32_e32 v21, s15
	;; [unrolled: 1-line block ×17, first 2 shown]
                                        ; implicit-def: $vgpr23
                                        ; implicit-def: $vgpr27
                                        ; implicit-def: $vgpr35
                                        ; implicit-def: $vgpr18
                                        ; implicit-def: $vgpr39
                                        ; implicit-def: $vgpr33
                                        ; implicit-def: $vgpr37
                                        ; implicit-def: $vgpr25
	s_xor_b32 exec_lo, exec_lo, s1
	s_cbranch_execz .LBB0_13
; %bb.12:
	s_add_u32 s6, s16, s6
	s_addc_u32 s7, s17, s7
	v_mul_u32_u24_e32 v1, 0x50, v17
	s_load_dwordx2 s[6:7], s[6:7], 0x0
	v_sub_nc_u32_e32 v44, v0, v1
	v_add_nc_u32_e32 v45, 0x50, v44
	v_mad_u64_u32 v[0:1], null, s20, v44, 0
	v_add_nc_u32_e32 v51, 0xa0, v44
	v_add_nc_u32_e32 v19, 0xf0, v44
	v_mad_u64_u32 v[5:6], null, s20, v45, 0
	v_add_nc_u32_e32 v18, 0x140, v44
	v_mad_u64_u32 v[7:8], null, s20, v51, 0
	v_mad_u64_u32 v[1:2], null, s21, v44, v[1:2]
	s_waitcnt lgkmcnt(0)
	v_mul_lo_u32 v15, s7, v30
	v_mul_lo_u32 v16, s6, v31
	v_mad_u64_u32 v[9:10], null, s6, v30, 0
	v_lshlrev_b64 v[2:3], 3, v[3:4]
	v_mov_b32_e32 v4, v6
	v_mad_u64_u32 v[11:12], null, s20, v19, 0
	v_mov_b32_e32 v6, v8
	v_lshlrev_b64 v[0:1], 3, v[0:1]
	v_add3_u32 v10, v10, v16, v15
	v_mad_u64_u32 v[15:16], null, s21, v45, v[4:5]
	v_mad_u64_u32 v[16:17], null, s21, v51, v[6:7]
	v_lshlrev_b64 v[9:10], 3, v[9:10]
	v_mad_u64_u32 v[13:14], null, s20, v18, 0
	v_mov_b32_e32 v8, v12
	v_mov_b32_e32 v6, v15
	v_add_nc_u32_e32 v20, 0x1e0, v44
	v_add_co_u32 v4, s0, s8, v9
	v_add_co_ci_u32_e64 v9, s0, s9, v10, s0
	v_add_nc_u32_e32 v22, 0x230, v44
	v_add_co_u32 v43, s0, v4, v2
	v_add_co_ci_u32_e64 v50, s0, v9, v3, s0
	v_lshlrev_b64 v[2:3], 3, v[5:6]
	v_add_co_u32 v0, s0, v43, v0
	v_mad_u64_u32 v[4:5], null, s21, v19, v[8:9]
	v_mov_b32_e32 v8, v16
	v_add_co_ci_u32_e64 v1, s0, v50, v1, s0
	v_mov_b32_e32 v5, v14
	v_add_co_u32 v9, s0, v43, v2
	v_add_co_ci_u32_e64 v10, s0, v50, v3, s0
	v_lshlrev_b64 v[2:3], 3, v[7:8]
	v_mov_b32_e32 v12, v4
	v_mad_u64_u32 v[4:5], null, s21, v18, v[5:6]
	v_add_nc_u32_e32 v8, 0x190, v44
	v_mad_u64_u32 v[15:16], null, s20, v20, 0
	v_add_co_u32 v5, s0, v43, v2
	v_add_co_ci_u32_e64 v6, s0, v50, v3, s0
	v_lshlrev_b64 v[2:3], 3, v[11:12]
	v_mad_u64_u32 v[11:12], null, s20, v8, 0
	v_mov_b32_e32 v14, v4
	v_mov_b32_e32 v7, v16
	v_or_b32_e32 v26, 0x280, v44
	v_add_co_u32 v17, s0, v43, v2
	v_add_co_ci_u32_e64 v18, s0, v50, v3, s0
	v_lshlrev_b64 v[3:4], 3, v[13:14]
	v_mov_b32_e32 v2, v12
	v_add_nc_u32_e32 v34, 0x2d0, v44
	v_add_nc_u32_e32 v36, 0x320, v44
	;; [unrolled: 1-line block ×4, first 2 shown]
	v_mad_u64_u32 v[12:13], null, s21, v8, v[2:3]
	v_mad_u64_u32 v[13:14], null, s21, v20, v[7:8]
	s_clause 0x3
	global_load_dwordx2 v[1:2], v[0:1], off
	global_load_dwordx2 v[7:8], v[9:10], off
	;; [unrolled: 1-line block ×4, first 2 shown]
	v_mad_u64_u32 v[20:21], null, s20, v22, 0
	v_mad_u64_u32 v[17:18], null, s20, v26, 0
	v_lshlrev_b64 v[11:12], 3, v[11:12]
	v_mov_b32_e32 v16, v13
	v_add_co_u32 v3, s0, v43, v3
	v_mov_b32_e32 v0, v21
	v_add_co_ci_u32_e64 v4, s0, v50, v4, s0
	v_add_co_u32 v11, s0, v43, v11
	v_mad_u64_u32 v[24:25], null, s20, v34, 0
	v_add_co_ci_u32_e64 v12, s0, v50, v12, s0
	v_mad_u64_u32 v[32:33], null, s20, v36, 0
	v_add_nc_u32_e32 v46, 0x4b0, v44
	s_waitcnt vmcnt(3)
	v_mad_u64_u32 v[13:14], null, s21, v22, v[0:1]
	v_lshlrev_b64 v[14:15], 3, v[15:16]
	v_mov_b32_e32 v0, v18
	v_mov_b32_e32 v21, v13
	v_add_co_u32 v22, s0, v43, v14
	v_add_co_ci_u32_e64 v23, s0, v50, v15, s0
	v_lshlrev_b64 v[13:14], 3, v[20:21]
	v_mad_u64_u32 v[15:16], null, s21, v26, v[0:1]
	v_mov_b32_e32 v0, v25
	v_add_co_u32 v26, s0, v43, v13
	v_add_co_ci_u32_e64 v27, s0, v50, v14, s0
	v_mov_b32_e32 v18, v15
	v_mad_u64_u32 v[34:35], null, s21, v34, v[0:1]
	s_clause 0x3
	global_load_dwordx2 v[20:21], v[3:4], off
	global_load_dwordx2 v[13:14], v[11:12], off
	;; [unrolled: 1-line block ×4, first 2 shown]
	v_mov_b32_e32 v0, v33
	v_add_nc_u32_e32 v26, 0x370, v44
	v_lshlrev_b64 v[3:4], 3, v[17:18]
	v_mad_u64_u32 v[17:18], null, s21, v36, v[0:1]
	v_mad_u64_u32 v[22:23], null, s20, v26, 0
	v_add_nc_u32_e32 v36, 0x3c0, v44
	v_mov_b32_e32 v25, v34
	v_mad_u64_u32 v[34:35], null, s20, v38, 0
	v_mov_b32_e32 v33, v17
	v_mad_u64_u32 v[17:18], null, s20, v36, 0
	v_mov_b32_e32 v0, v23
	v_lshlrev_b64 v[24:25], 3, v[24:25]
	v_add_co_u32 v3, s0, v43, v3
	v_lshlrev_b64 v[32:33], 3, v[32:33]
	v_mad_u64_u32 v[26:27], null, s21, v26, v[0:1]
	v_mov_b32_e32 v0, v18
	v_add_co_ci_u32_e64 v4, s0, v50, v4, s0
	v_add_co_u32 v24, s0, v43, v24
	v_add_co_ci_u32_e64 v25, s0, v50, v25, s0
	v_mov_b32_e32 v23, v26
	v_mad_u64_u32 v[26:27], null, s21, v36, v[0:1]
	v_mov_b32_e32 v0, v35
	v_mad_u64_u32 v[36:37], null, s20, v41, 0
	v_lshlrev_b64 v[22:23], 3, v[22:23]
	v_add_co_u32 v32, s0, v43, v32
	v_mad_u64_u32 v[38:39], null, s21, v38, v[0:1]
	v_mad_u64_u32 v[39:40], null, s20, v46, 0
	v_mov_b32_e32 v0, v37
	v_mov_b32_e32 v18, v26
	v_add_co_ci_u32_e64 v33, s0, v50, v33, s0
	v_mov_b32_e32 v35, v38
	v_mad_u64_u32 v[26:27], null, s21, v41, v[0:1]
	v_mov_b32_e32 v0, v40
	v_add_co_u32 v41, s0, v43, v22
	v_add_co_ci_u32_e64 v42, s0, v50, v23, s0
	v_mad_u64_u32 v[22:23], null, s21, v46, v[0:1]
	v_lshlrev_b64 v[17:18], 3, v[17:18]
	v_mov_b32_e32 v37, v26
	v_lshlrev_b64 v[34:35], 3, v[34:35]
	v_add_co_u32 v46, s0, v43, v17
	v_mov_b32_e32 v40, v22
	v_add_co_ci_u32_e64 v47, s0, v50, v18, s0
	v_lshlrev_b64 v[17:18], 3, v[36:37]
	v_add_co_u32 v36, s0, v43, v34
	v_lshlrev_b64 v[22:23], 3, v[39:40]
	v_add_co_ci_u32_e64 v37, s0, v50, v35, s0
	v_add_co_u32 v48, s0, v43, v17
	v_add_co_ci_u32_e64 v49, s0, v50, v18, s0
	v_add_co_u32 v52, s0, v43, v22
	v_add_co_ci_u32_e64 v53, s0, v50, v23, s0
	s_clause 0x7
	global_load_dwordx2 v[22:23], v[3:4], off
	global_load_dwordx2 v[26:27], v[24:25], off
	;; [unrolled: 1-line block ×8, first 2 shown]
	v_mov_b32_e32 v46, v44
.LBB0_13:
	s_or_b32 exec_lo, exec_lo, s1
	s_waitcnt vmcnt(7)
	v_sub_f32_e32 v3, v1, v22
	s_waitcnt vmcnt(5)
	v_sub_f32_e32 v4, v9, v34
	v_sub_f32_e32 v34, v10, v35
	s_waitcnt vmcnt(1)
	v_sub_f32_e32 v36, v15, v36
	v_sub_f32_e32 v0, v20, v38
	v_fma_f32 v35, v1, 2.0, -v3
	v_sub_f32_e32 v37, v16, v37
	v_fma_f32 v1, v10, 2.0, -v34
	v_fma_f32 v10, v15, 2.0, -v36
	v_sub_f32_e32 v15, v7, v26
	v_sub_f32_e32 v26, v8, v27
	;; [unrolled: 1-line block ×5, first 2 shown]
	v_fma_f32 v20, v20, 2.0, -v0
	v_fma_f32 v9, v9, 2.0, -v4
	;; [unrolled: 1-line block ×4, first 2 shown]
	v_sub_f32_e32 v17, v5, v17
	v_fma_f32 v8, v8, 2.0, -v26
	v_fma_f32 v13, v13, 2.0, -v27
	;; [unrolled: 1-line block ×3, first 2 shown]
	s_waitcnt vmcnt(0)
	v_sub_f32_e32 v33, v11, v24
	v_sub_f32_e32 v38, v12, v25
	;; [unrolled: 1-line block ×4, first 2 shown]
	v_fma_f32 v5, v5, 2.0, -v17
	v_sub_f32_e32 v20, v35, v20
	v_sub_f32_e32 v39, v3, v22
	v_fma_f32 v11, v11, 2.0, -v33
	v_sub_f32_e32 v24, v9, v10
	v_sub_f32_e32 v25, v1, v16
	;; [unrolled: 1-line block ×3, first 2 shown]
	v_fma_f32 v49, v4, 2.0, -v42
	v_sub_f32_e32 v4, v8, v14
	v_sub_f32_e32 v13, v15, v32
	;; [unrolled: 1-line block ×3, first 2 shown]
	v_fma_f32 v12, v12, 2.0, -v38
	v_fma_f32 v35, v35, 2.0, -v20
	v_fma_f32 v3, v3, 2.0, -v39
	v_add_f32_e32 v43, v36, v34
	v_fma_f32 v9, v9, 2.0, -v24
	v_add_f32_e32 v14, v27, v26
	v_fma_f32 v27, v8, 2.0, -v4
	v_sub_f32_e32 v8, v5, v11
	v_fma_f32 v11, v15, 2.0, -v13
	v_add_f32_e32 v38, v33, v18
	v_fma_f32 v17, v17, 2.0, -v16
	v_fma_f32 v6, v6, 2.0, -v18
	;; [unrolled: 1-line block ×4, first 2 shown]
	v_fmamk_f32 v47, v49, 0xbf3504f3, v3
	v_sub_f32_e32 v48, v35, v9
	v_fma_f32 v9, v18, 2.0, -v38
	v_fmamk_f32 v26, v17, 0xbf3504f3, v11
	v_sub_f32_e32 v12, v6, v12
	v_fmac_f32_e32 v47, 0xbf3504f3, v50
	v_fmamk_f32 v52, v42, 0x3f3504f3, v39
	v_fmamk_f32 v34, v9, 0xbf3504f3, v15
	v_fmac_f32_e32 v26, 0xbf3504f3, v9
	v_fmamk_f32 v36, v16, 0x3f3504f3, v13
	v_fma_f32 v6, v6, 2.0, -v12
	v_fma_f32 v3, v3, 2.0, -v47
	v_fmac_f32_e32 v52, 0xbf3504f3, v43
	v_fmac_f32_e32 v34, 0x3f3504f3, v17
	v_fma_f32 v32, v11, 2.0, -v26
	v_fmamk_f32 v37, v38, 0x3f3504f3, v14
	v_fmac_f32_e32 v36, 0xbf3504f3, v38
	v_fma_f32 v7, v7, 2.0, -v10
	v_fma_f32 v5, v5, 2.0, -v8
	v_sub_f32_e32 v18, v20, v25
	v_fma_f32 v53, v35, 2.0, -v48
	v_fma_f32 v39, v39, 2.0, -v52
	v_sub_f32_e32 v40, v27, v6
	v_sub_f32_e32 v55, v10, v12
	v_fma_f32 v35, v15, 2.0, -v34
	v_fmamk_f32 v6, v32, 0xbf6c835e, v3
	v_fmac_f32_e32 v37, 0x3f3504f3, v16
	v_fma_f32 v38, v13, 2.0, -v36
	v_fma_f32 v20, v20, 2.0, -v18
	v_sub_f32_e32 v33, v7, v5
	v_add_f32_e32 v60, v4, v8
	v_fma_f32 v61, v10, 2.0, -v55
	v_fmac_f32_e32 v6, 0xbec3ef15, v35
	v_fma_f32 v41, v14, 2.0, -v37
	v_fmamk_f32 v8, v38, 0xbec3ef15, v39
	v_fma_f32 v5, v7, 2.0, -v33
	v_fma_f32 v62, v4, 2.0, -v60
	v_fmamk_f32 v7, v61, 0xbf3504f3, v20
	v_fma_f32 v10, v3, 2.0, -v6
	v_fmamk_f32 v14, v26, 0x3ec3ef15, v47
	v_fmac_f32_e32 v8, 0xbf6c835e, v41
	v_fmamk_f32 v3, v55, 0x3f3504f3, v18
	v_fmamk_f32 v4, v36, 0x3f6c835e, v52
	v_sub_f32_e32 v5, v53, v5
	v_fmac_f32_e32 v7, 0xbf3504f3, v62
	v_sub_f32_e32 v13, v48, v40
	v_fmac_f32_e32 v14, 0xbf6c835e, v34
	v_fma_f32 v12, v39, 2.0, -v8
	v_fmac_f32_e32 v3, 0xbf3504f3, v60
	v_fmac_f32_e32 v4, 0xbec3ef15, v37
	v_lshl_add_u32 v39, v44, 6, 0
	v_fma_f32 v9, v53, 2.0, -v5
	v_fma_f32 v11, v20, 2.0, -v7
	;; [unrolled: 1-line block ×6, first 2 shown]
	v_mad_i32_i24 v20, 0xffffffc4, v44, v39
	s_load_dwordx2 s[4:5], s[4:5], 0x0
	ds_write2_b64 v39, v[9:10], v[11:12] offset1:1
	ds_write2_b64 v39, v[15:16], v[17:18] offset0:2 offset1:3
	ds_write2_b64 v39, v[5:6], v[7:8] offset0:4 offset1:5
	;; [unrolled: 1-line block ×3, first 2 shown]
	v_add_nc_u32_e32 v3, 0x800, v20
	v_add_nc_u32_e32 v7, 0xa00, v20
	s_waitcnt lgkmcnt(0)
	s_barrier
	buffer_gl0_inv
	ds_read2st64_b32 v[5:6], v20 offset1:4
	ds_read2_b32 v[15:16], v3 offset1:80
	ds_read2_b32 v[9:10], v7 offset0:32 offset1:128
	v_add_nc_u32_e32 v3, 0x1000, v20
	v_add_nc_u32_e32 v7, 0x400, v20
	;; [unrolled: 1-line block ×3, first 2 shown]
	v_lshl_add_u32 v47, v45, 2, 0
	v_lshl_add_u32 v48, v51, 2, 0
	ds_read2_b32 v[17:18], v3 offset1:80
	ds_read2_b32 v[7:8], v7 offset0:80 offset1:160
	ds_read2_b32 v[11:12], v11 offset0:80 offset1:160
	ds_read_b32 v53, v47
	ds_read_b32 v52, v48
	ds_read_b32 v54, v20 offset:4736
	v_mul_i32_i24_e32 v13, 0xffffffc4, v44
	v_mul_f32_e32 v56, 0x3f3504f3, v49
	v_mul_f32_e32 v58, 0x3f3504f3, v50
	;; [unrolled: 1-line block ×8, first 2 shown]
	v_cmp_gt_u32_e64 s0, 16, v44
	v_add_nc_u32_e32 v49, v39, v13
	v_lshl_add_u32 v50, v19, 2, 0
                                        ; implicit-def: $vgpr14
                                        ; implicit-def: $vgpr20
	s_and_saveexec_b32 s1, s0
	s_cbranch_execz .LBB0_15
; %bb.14:
	v_add_nc_u32_e32 v13, 0xc0, v49
	ds_read_b32 v4, v50
	ds_read2st64_b32 v[19:20], v13 offset0:7 offset1:11
	ds_read2st64_b32 v[13:14], v13 offset0:15 offset1:19
.LBB0_15:
	s_or_b32 exec_lo, exec_lo, s1
	v_sub_f32_e32 v23, v2, v23
	v_fma_f32 v21, v21, 2.0, -v22
	v_fma_f32 v1, v1, 2.0, -v25
	;; [unrolled: 1-line block ×3, first 2 shown]
	s_waitcnt lgkmcnt(0)
	v_add_f32_e32 v0, v0, v23
	v_fma_f32 v2, v2, 2.0, -v23
	s_barrier
	buffer_gl0_inv
	v_fma_f32 v22, v23, 2.0, -v0
	v_sub_f32_e32 v21, v2, v21
	v_add_f32_e32 v23, v0, v59
	v_sub_f32_e32 v25, v22, v58
	v_fma_f32 v2, v2, 2.0, -v21
	v_add_f32_e32 v58, v21, v24
	v_add_f32_e32 v57, v57, v23
	;; [unrolled: 1-line block ×3, first 2 shown]
	v_sub_f32_e32 v40, v2, v1
	v_fma_f32 v59, v21, 2.0, -v58
	v_fma_f32 v60, v0, 2.0, -v57
	v_add_f32_e32 v0, v58, v55
	v_fma_f32 v55, v22, 2.0, -v56
	v_fmamk_f32 v1, v37, 0x3f6c835e, v57
	v_fmamk_f32 v24, v34, 0x3ec3ef15, v56
	v_fma_f32 v37, v2, 2.0, -v40
	v_sub_f32_e32 v2, v59, v43
	v_fmamk_f32 v22, v41, 0xbec3ef15, v60
	v_fmamk_f32 v34, v35, 0xbf6c835e, v55
	v_add_f32_e32 v23, v40, v33
	v_add_f32_e32 v0, v42, v0
	v_fmac_f32_e32 v1, 0x3ec3ef15, v36
	v_fmac_f32_e32 v24, 0x3f6c835e, v26
	v_sub_f32_e32 v33, v37, v27
	v_add_f32_e32 v21, v3, v2
	v_fmac_f32_e32 v22, 0x3f6c835e, v38
	v_fmac_f32_e32 v34, 0x3ec3ef15, v32
	v_fma_f32 v2, v40, 2.0, -v23
	v_fma_f32 v25, v58, 2.0, -v0
	;; [unrolled: 1-line block ×8, first 2 shown]
	ds_write2_b64 v39, v[2:3], v[25:26] offset0:2 offset1:3
	ds_write2_b64 v39, v[35:36], v[37:38] offset1:1
	ds_write2_b64 v39, v[33:34], v[21:22] offset0:4 offset1:5
	ds_write2_b64 v39, v[23:24], v[0:1] offset0:6 offset1:7
	v_add_nc_u32_e32 v0, 0x800, v49
	v_add_nc_u32_e32 v21, 0xa00, v49
	;; [unrolled: 1-line block ×5, first 2 shown]
	s_waitcnt lgkmcnt(0)
	s_barrier
	buffer_gl0_inv
	ds_read2st64_b32 v[2:3], v49 offset1:4
	ds_read2_b32 v[38:39], v0 offset1:80
	ds_read2_b32 v[32:33], v21 offset0:32 offset1:128
	ds_read2_b32 v[36:37], v22 offset1:80
	ds_read2_b32 v[21:22], v23 offset0:80 offset1:160
	ds_read2_b32 v[25:26], v24 offset0:80 offset1:160
	ds_read_b32 v27, v47
	ds_read_b32 v0, v48
	ds_read_b32 v55, v49 offset:4736
                                        ; implicit-def: $vgpr24
                                        ; implicit-def: $vgpr35
	s_and_saveexec_b32 s1, s0
	s_cbranch_execz .LBB0_17
; %bb.16:
	v_add_nc_u32_e32 v23, 0xc0, v49
	ds_read_b32 v1, v50
	ds_read2st64_b32 v[34:35], v23 offset0:7 offset1:11
	ds_read2st64_b32 v[23:24], v23 offset0:15 offset1:19
.LBB0_17:
	s_or_b32 exec_lo, exec_lo, s1
	v_lshlrev_b32_e32 v40, 5, v44
	v_lshrrev_b32_e32 v51, 4, v51
	v_lshrrev_b32_e32 v45, 4, v45
	v_and_b32_e32 v56, 0x1e0, v40
	v_mul_lo_u32 v51, 0x50, v51
	v_mul_lo_u32 v58, 0x50, v45
	v_lshl_add_u32 v45, v44, 2, 0
	s_clause 0x7
	global_load_dwordx2 v[40:41], v56, s[12:13] offset:8
	global_load_dwordx2 v[42:43], v56, s[12:13] offset:24
	;; [unrolled: 1-line block ×5, first 2 shown]
	global_load_dwordx2 v[75:76], v56, s[12:13]
	global_load_dwordx2 v[77:78], v56, s[12:13] offset:20
	global_load_dword v79, v56, s[12:13] offset:28
	v_and_b32_e32 v56, 15, v44
	v_lshlrev_b32_e32 v57, 5, v56
	v_or_b32_e32 v51, v51, v56
	v_or_b32_e32 v58, v58, v56
	global_load_dword v80, v57, s[12:13]
	v_lshrrev_b32_e32 v57, 4, v44
	v_lshl_add_u32 v58, v58, 2, 0
	s_waitcnt vmcnt(0) lgkmcnt(0)
	s_barrier
	buffer_gl0_inv
	v_mul_u32_u24_e32 v57, 0x50, v57
	v_or_b32_e32 v57, v57, v56
	v_lshl_add_u32 v59, v57, 2, 0
	v_lshl_add_u32 v57, v51, 2, 0
	v_mul_f32_e32 v63, v38, v41
	v_mul_f32_e32 v68, v39, v41
	;; [unrolled: 1-line block ×16, first 2 shown]
	v_fma_f32 v67, v15, v72, -v63
	v_fma_f32 v63, v16, v72, -v68
	;; [unrolled: 1-line block ×3, first 2 shown]
	v_mul_f32_e32 v81, v55, v43
	v_fmac_f32_e32 v61, v37, v78
	v_mul_f32_e32 v16, v54, v43
	v_mul_f32_e32 v43, v23, v77
	v_fma_f32 v37, v10, v74, -v83
	v_mul_f32_e32 v10, v13, v77
	v_mul_f32_e32 v77, v3, v76
	;; [unrolled: 1-line block ×8, first 2 shown]
	v_fmac_f32_e32 v64, v36, v78
	v_mul_f32_e32 v36, v6, v76
	v_fmac_f32_e32 v66, v33, v74
	v_fma_f32 v33, v11, v74, -v85
	v_fma_f32 v11, v20, v40, -v71
	;; [unrolled: 1-line block ×3, first 2 shown]
	v_fmac_f32_e32 v65, v38, v72
	v_fmac_f32_e32 v60, v39, v72
	v_mul_f32_e32 v38, v7, v76
	v_fma_f32 v39, v18, v78, -v82
	v_fma_f32 v18, v9, v72, -v84
	v_mul_f32_e32 v9, v14, v79
	v_fmac_f32_e32 v41, v32, v72
	v_fma_f32 v32, v12, v74, -v86
	v_fma_f32 v12, v19, v75, -v70
	;; [unrolled: 1-line block ×3, first 2 shown]
	v_mul_f32_e32 v17, v8, v76
	v_mul_f32_e32 v72, v24, v79
	v_fma_f32 v7, v8, v80, -v87
	v_fma_f32 v8, v54, v78, -v81
	v_fmac_f32_e32 v36, v3, v80
	v_fma_f32 v3, v13, v69, -v43
	v_add_f32_e32 v13, v67, v37
	v_fmac_f32_e32 v62, v25, v74
	v_add_f32_e32 v25, v20, v68
	v_fmac_f32_e32 v51, v26, v74
	v_fmac_f32_e32 v15, v35, v40
	;; [unrolled: 1-line block ×6, first 2 shown]
	v_sub_f32_e32 v23, v20, v67
	v_sub_f32_e32 v24, v68, v37
	;; [unrolled: 1-line block ×4, first 2 shown]
	v_add_f32_e32 v35, v63, v33
	v_add_f32_e32 v43, v19, v39
	v_fmac_f32_e32 v16, v55, v78
	v_fmac_f32_e32 v17, v22, v80
	v_fma_f32 v6, v14, v42, -v72
	v_add_f32_e32 v14, v5, v20
	v_sub_f32_e32 v21, v36, v64
	v_sub_f32_e32 v40, v19, v63
	;; [unrolled: 1-line block ×5, first 2 shown]
	v_add_f32_e32 v72, v18, v32
	v_add_f32_e32 v73, v7, v8
	v_fma_f32 v13, -0.5, v13, v5
	v_sub_f32_e32 v22, v65, v66
	v_add_f32_e32 v69, v53, v19
	v_fmac_f32_e32 v5, -0.5, v25
	v_sub_f32_e32 v70, v7, v18
	v_sub_f32_e32 v71, v8, v32
	;; [unrolled: 1-line block ×3, first 2 shown]
	v_add_f32_e32 v23, v23, v24
	v_add_f32_e32 v24, v26, v34
	v_fma_f32 v26, -0.5, v35, v53
	v_sub_f32_e32 v78, v60, v62
	v_fmac_f32_e32 v53, -0.5, v43
	v_add_f32_e32 v74, v52, v7
	v_sub_f32_e32 v79, v17, v16
	v_sub_f32_e32 v80, v41, v51
	v_add_f32_e32 v14, v14, v67
	v_add_f32_e32 v25, v40, v42
	;; [unrolled: 1-line block ×3, first 2 shown]
	v_fma_f32 v40, -0.5, v72, v52
	v_fmac_f32_e32 v52, -0.5, v73
	v_fmamk_f32 v55, v21, 0x3f737871, v13
	v_add_f32_e32 v43, v69, v63
	v_fmamk_f32 v69, v22, 0xbf737871, v5
	v_fmac_f32_e32 v5, 0x3f737871, v22
	v_fmac_f32_e32 v13, 0xbf737871, v21
	v_add_f32_e32 v35, v70, v71
	v_fmamk_f32 v70, v77, 0x3f737871, v26
	v_fmamk_f32 v71, v78, 0xbf737871, v53
	v_fmac_f32_e32 v53, 0x3f737871, v78
	v_sub_f32_e32 v75, v18, v7
	v_sub_f32_e32 v76, v32, v8
	v_add_f32_e32 v54, v74, v18
	v_add_f32_e32 v14, v14, v37
	v_fmac_f32_e32 v26, 0xbf737871, v77
	v_fmamk_f32 v72, v79, 0x3f737871, v40
	v_fmac_f32_e32 v40, 0xbf737871, v79
	v_fmamk_f32 v73, v80, 0xbf737871, v52
	v_fmac_f32_e32 v52, 0x3f737871, v80
	v_fmac_f32_e32 v55, 0x3f167918, v22
	;; [unrolled: 1-line block ×5, first 2 shown]
	v_add_f32_e32 v43, v43, v33
	v_fmac_f32_e32 v70, 0x3f167918, v78
	v_fmac_f32_e32 v71, 0x3f167918, v77
	;; [unrolled: 1-line block ×3, first 2 shown]
	v_add_f32_e32 v42, v75, v76
	v_add_f32_e32 v54, v54, v32
	;; [unrolled: 1-line block ×3, first 2 shown]
	v_fmac_f32_e32 v26, 0xbf167918, v78
	v_fmac_f32_e32 v72, 0x3f167918, v80
	;; [unrolled: 1-line block ×9, first 2 shown]
	v_add_f32_e32 v21, v43, v39
	v_fmac_f32_e32 v70, 0x3e9e377a, v25
	v_fmac_f32_e32 v71, 0x3e9e377a, v34
	;; [unrolled: 1-line block ×3, first 2 shown]
	v_add_f32_e32 v22, v54, v8
	v_fmac_f32_e32 v26, 0x3e9e377a, v25
	v_fmac_f32_e32 v72, 0x3e9e377a, v35
	;; [unrolled: 1-line block ×5, first 2 shown]
	ds_write2_b32 v59, v14, v55 offset1:16
	ds_write2_b32 v59, v69, v5 offset0:32 offset1:48
	ds_write_b32 v59, v13 offset:256
	ds_write2_b32 v58, v21, v70 offset1:16
	ds_write2_b32 v58, v71, v53 offset0:32 offset1:48
	ds_write_b32 v58, v26 offset:256
	;; [unrolled: 3-line block ×3, first 2 shown]
	s_and_saveexec_b32 s1, s0
	s_cbranch_execz .LBB0_19
; %bb.18:
	v_add_f32_e32 v5, v12, v6
	v_add_f32_e32 v21, v11, v3
	v_sub_f32_e32 v23, v56, v9
	v_add_f32_e32 v24, v4, v12
	v_sub_f32_e32 v13, v11, v12
	v_fma_f32 v5, -0.5, v5, v4
	v_fma_f32 v4, -0.5, v21, v4
	v_sub_f32_e32 v14, v3, v6
	v_sub_f32_e32 v22, v15, v10
	;; [unrolled: 1-line block ×4, first 2 shown]
	v_fmamk_f32 v26, v23, 0xbf737871, v4
	v_fmac_f32_e32 v4, 0x3f737871, v23
	v_add_f32_e32 v24, v24, v11
	v_add_f32_e32 v13, v13, v14
	v_fmamk_f32 v14, v22, 0x3f737871, v5
	v_fmac_f32_e32 v5, 0xbf737871, v22
	v_add_f32_e32 v21, v21, v25
	v_fmac_f32_e32 v4, 0x3f167918, v22
	v_add_f32_e32 v24, v24, v3
	v_fmac_f32_e32 v14, 0xbf167918, v23
	v_fmac_f32_e32 v5, 0x3f167918, v23
	;; [unrolled: 1-line block ×4, first 2 shown]
	v_add_f32_e32 v22, v24, v6
	v_add_nc_u32_e32 v23, 0x1000, v45
	v_fmac_f32_e32 v14, 0x3e9e377a, v13
	v_fmac_f32_e32 v5, 0x3e9e377a, v13
	v_fmac_f32_e32 v26, 0x3e9e377a, v21
	ds_write2_b32 v23, v22, v4 offset0:176 offset1:192
	ds_write2_b32 v23, v5, v14 offset0:208 offset1:224
	ds_write_b32 v45, v26 offset:5056
.LBB0_19:
	s_or_b32 exec_lo, exec_lo, s1
	v_add_f32_e32 v4, v65, v66
	v_sub_f32_e32 v13, v20, v68
	v_add_f32_e32 v22, v36, v64
	v_add_f32_e32 v5, v2, v36
	v_sub_f32_e32 v14, v67, v37
	v_fma_f32 v4, -0.5, v4, v2
	v_sub_f32_e32 v20, v36, v65
	v_sub_f32_e32 v21, v64, v66
	v_fmac_f32_e32 v2, -0.5, v22
	v_add_f32_e32 v22, v27, v38
	v_fmamk_f32 v24, v13, 0xbf737871, v4
	v_fmac_f32_e32 v4, 0x3f737871, v13
	v_sub_f32_e32 v23, v65, v36
	v_sub_f32_e32 v25, v66, v64
	v_add_f32_e32 v20, v20, v21
	v_fmac_f32_e32 v24, 0xbf167918, v14
	v_fmamk_f32 v21, v14, 0x3f737871, v2
	v_fmac_f32_e32 v4, 0x3f167918, v14
	v_fmac_f32_e32 v2, 0xbf737871, v14
	v_add_f32_e32 v14, v22, v60
	v_add_f32_e32 v22, v60, v62
	v_fmac_f32_e32 v24, 0x3e9e377a, v20
	v_fmac_f32_e32 v21, 0xbf167918, v13
	v_add_f32_e32 v23, v23, v25
	v_fmac_f32_e32 v4, 0x3e9e377a, v20
	v_fmac_f32_e32 v2, 0x3f167918, v13
	v_add_f32_e32 v13, v14, v62
	v_fma_f32 v14, -0.5, v22, v27
	v_add_f32_e32 v20, v38, v61
	v_sub_f32_e32 v19, v19, v39
	v_fmac_f32_e32 v21, 0x3e9e377a, v23
	v_fmac_f32_e32 v2, 0x3e9e377a, v23
	v_sub_f32_e32 v22, v63, v33
	v_fmac_f32_e32 v27, -0.5, v20
	v_fmamk_f32 v20, v19, 0xbf737871, v14
	v_sub_f32_e32 v23, v38, v60
	v_sub_f32_e32 v25, v61, v62
	v_fmac_f32_e32 v14, 0x3f737871, v19
	v_fmamk_f32 v26, v22, 0x3f737871, v27
	v_fmac_f32_e32 v20, 0xbf167918, v22
	v_fmac_f32_e32 v27, 0xbf737871, v22
	v_add_f32_e32 v23, v23, v25
	v_fmac_f32_e32 v14, 0x3f167918, v22
	v_add_f32_e32 v22, v41, v51
	v_sub_f32_e32 v33, v60, v38
	v_sub_f32_e32 v34, v62, v61
	v_fmac_f32_e32 v26, 0xbf167918, v19
	v_fmac_f32_e32 v20, 0x3e9e377a, v23
	;; [unrolled: 1-line block ×4, first 2 shown]
	v_add_f32_e32 v19, v0, v17
	v_fma_f32 v22, -0.5, v22, v0
	v_add_f32_e32 v23, v17, v16
	v_sub_f32_e32 v7, v7, v8
	v_add_f32_e32 v25, v33, v34
	v_add_f32_e32 v8, v19, v41
	v_sub_f32_e32 v18, v18, v32
	v_fmac_f32_e32 v0, -0.5, v23
	v_fmamk_f32 v19, v7, 0xbf737871, v22
	v_fmac_f32_e32 v22, 0x3f737871, v7
	v_fmac_f32_e32 v26, 0x3e9e377a, v25
	;; [unrolled: 1-line block ×3, first 2 shown]
	v_sub_f32_e32 v23, v17, v41
	v_sub_f32_e32 v25, v16, v51
	v_fmamk_f32 v55, v18, 0x3f737871, v0
	v_fmac_f32_e32 v19, 0xbf167918, v18
	v_fmac_f32_e32 v22, 0x3f167918, v18
	;; [unrolled: 1-line block ×3, first 2 shown]
	v_add_nc_u32_e32 v18, 0x400, v49
	v_add_nc_u32_e32 v34, 0x800, v49
	;; [unrolled: 1-line block ×4, first 2 shown]
	v_sub_f32_e32 v17, v41, v17
	v_add_nc_u32_e32 v41, 0x1000, v49
	v_add_f32_e32 v8, v8, v51
	v_add_f32_e32 v23, v23, v25
	v_sub_f32_e32 v25, v51, v16
	s_waitcnt lgkmcnt(0)
	s_barrier
	buffer_gl0_inv
	ds_read2st64_b32 v[32:33], v49 offset1:5
	ds_read_b32 v51, v47
	ds_read_b32 v52, v48
	ds_read2_b32 v[42:43], v18 offset0:144 offset1:224
	ds_read2_b32 v[36:37], v34 offset0:48 offset1:128
	;; [unrolled: 1-line block ×5, first 2 shown]
	ds_read_b32 v54, v50
	ds_read_b32 v53, v49 offset:4800
	v_add_f32_e32 v5, v5, v65
	v_fmac_f32_e32 v55, 0xbf167918, v7
	v_add_f32_e32 v17, v17, v25
	v_fmac_f32_e32 v0, 0x3f167918, v7
	v_add_f32_e32 v13, v13, v61
	v_add_f32_e32 v5, v5, v66
	;; [unrolled: 1-line block ×3, first 2 shown]
	v_fmac_f32_e32 v19, 0x3e9e377a, v23
	v_fmac_f32_e32 v22, 0x3e9e377a, v23
	;; [unrolled: 1-line block ×3, first 2 shown]
	v_add_f32_e32 v5, v5, v64
	v_fmac_f32_e32 v0, 0x3e9e377a, v17
	s_waitcnt lgkmcnt(0)
	s_barrier
	buffer_gl0_inv
	ds_write2_b32 v59, v5, v24 offset1:16
	ds_write2_b32 v59, v21, v2 offset0:32 offset1:48
	ds_write_b32 v59, v4 offset:256
	ds_write2_b32 v58, v13, v20 offset1:16
	ds_write2_b32 v58, v26, v27 offset0:32 offset1:48
	ds_write_b32 v58, v14 offset:256
	;; [unrolled: 3-line block ×3, first 2 shown]
	s_and_saveexec_b32 s1, s0
	s_cbranch_execz .LBB0_21
; %bb.20:
	v_add_f32_e32 v0, v15, v10
	v_add_f32_e32 v2, v1, v56
	;; [unrolled: 1-line block ×3, first 2 shown]
	v_sub_f32_e32 v4, v12, v6
	v_sub_f32_e32 v3, v11, v3
	v_fma_f32 v0, -0.5, v0, v1
	v_add_f32_e32 v2, v2, v15
	v_fmac_f32_e32 v1, -0.5, v5
	v_sub_f32_e32 v6, v56, v15
	v_sub_f32_e32 v7, v9, v10
	v_fmamk_f32 v5, v4, 0xbf737871, v0
	v_sub_f32_e32 v8, v15, v56
	v_sub_f32_e32 v11, v10, v9
	v_add_f32_e32 v2, v2, v10
	v_fmamk_f32 v10, v3, 0x3f737871, v1
	v_fmac_f32_e32 v1, 0xbf737871, v3
	v_fmac_f32_e32 v0, 0x3f737871, v4
	;; [unrolled: 1-line block ×3, first 2 shown]
	v_add_f32_e32 v6, v6, v7
	v_fmac_f32_e32 v10, 0xbf167918, v4
	v_add_f32_e32 v7, v8, v11
	v_fmac_f32_e32 v1, 0x3f167918, v4
	v_fmac_f32_e32 v0, 0x3f167918, v3
	v_add_f32_e32 v2, v2, v9
	v_fmac_f32_e32 v5, 0x3e9e377a, v6
	v_add_nc_u32_e32 v3, 0x1000, v45
	v_fmac_f32_e32 v10, 0x3e9e377a, v7
	v_fmac_f32_e32 v1, 0x3e9e377a, v7
	;; [unrolled: 1-line block ×3, first 2 shown]
	ds_write2_b32 v3, v2, v5 offset0:176 offset1:192
	ds_write2_b32 v3, v10, v1 offset0:208 offset1:224
	ds_write_b32 v45, v0 offset:5056
.LBB0_21:
	s_or_b32 exec_lo, exec_lo, s1
	s_waitcnt lgkmcnt(0)
	s_barrier
	buffer_gl0_inv
	s_and_saveexec_b32 s0, vcc_lo
	s_cbranch_execz .LBB0_23
; %bb.22:
	v_mul_u32_u24_e32 v0, 15, v44
	v_mul_lo_u32 v74, s5, v30
	v_mul_lo_u32 v75, s4, v31
	v_mad_u64_u32 v[56:57], null, s4, v30, 0
	v_lshlrev_b32_e32 v44, 3, v0
	v_add_nc_u32_e32 v76, 0x50, v46
	v_add_nc_u32_e32 v77, 0xa0, v46
	;; [unrolled: 1-line block ×4, first 2 shown]
	s_clause 0x7
	global_load_dwordx4 v[24:27], v44, s[12:13] offset:544
	global_load_dwordx4 v[20:23], v44, s[12:13] offset:608
	;; [unrolled: 1-line block ×7, first 2 shown]
	global_load_dwordx2 v[44:45], v44, s[12:13] offset:624
	v_add_nc_u32_e32 v80, 0x190, v46
	v_mad_u64_u32 v[60:61], null, s2, v76, 0
	v_mad_u64_u32 v[62:63], null, s2, v77, 0
	;; [unrolled: 1-line block ×5, first 2 shown]
	v_add3_u32 v57, v57, v75, v74
	v_mad_u64_u32 v[58:59], null, s2, v46, 0
	v_add_nc_u32_e32 v81, 0x1e0, v46
	v_add_nc_u32_e32 v82, 0x230, v46
	v_mad_u64_u32 v[74:75], null, s3, v76, v[61:62]
	v_mov_b32_e32 v61, v67
	v_lshlrev_b64 v[56:57], 3, v[56:57]
	v_mad_u64_u32 v[75:76], null, s3, v77, v[63:64]
	v_mov_b32_e32 v63, v69
	v_mad_u64_u32 v[70:71], null, s2, v81, 0
	v_mad_u64_u32 v[72:73], null, s2, v82, 0
	;; [unrolled: 1-line block ×4, first 2 shown]
	v_lshlrev_b64 v[28:29], 3, v[28:29]
	v_or_b32_e32 v84, 0x280, v46
	v_mad_u64_u32 v[78:79], null, s3, v79, v[61:62]
	v_mad_u64_u32 v[79:80], null, s3, v80, v[63:64]
	v_add_co_u32 v63, vcc_lo, s10, v56
	v_add_co_ci_u32_e32 v65, vcc_lo, s11, v57, vcc_lo
	v_mad_u64_u32 v[56:57], null, s2, v84, 0
	v_mov_b32_e32 v61, v71
	v_add_co_u32 v87, vcc_lo, v63, v28
	v_mov_b32_e32 v28, v73
	v_add_nc_u32_e32 v73, 0x2d0, v46
	v_mad_u64_u32 v[80:81], null, s3, v81, v[61:62]
	v_mov_b32_e32 v61, v74
	v_mov_b32_e32 v63, v75
	v_mad_u64_u32 v[74:75], null, s2, v73, 0
	v_add_co_ci_u32_e32 v88, vcc_lo, v65, v29, vcc_lo
	v_mad_u64_u32 v[28:29], null, s3, v82, v[28:29]
	v_add_nc_u32_e32 v30, 0xa00, v49
	v_mov_b32_e32 v29, v57
	v_add_nc_u32_e32 v85, 0x320, v46
	v_add_nc_u32_e32 v55, 0x400, v49
	v_mov_b32_e32 v59, v77
	v_mov_b32_e32 v65, v76
	v_mad_u64_u32 v[76:77], null, s3, v84, v[29:30]
	v_mov_b32_e32 v67, v78
	v_mad_u64_u32 v[77:78], null, s2, v85, 0
	v_mov_b32_e32 v29, v75
	v_add_nc_u32_e32 v31, 0x1000, v49
	ds_read2st64_b32 v[81:82], v49 offset1:5
	ds_read_b32 v89, v50
	ds_read_b32 v90, v49 offset:4800
	v_mov_b32_e32 v69, v79
	ds_read_b32 v91, v48
	ds_read_b32 v92, v47
	v_mov_b32_e32 v71, v80
	ds_read2_b32 v[79:80], v55 offset0:144 offset1:224
	v_add_nc_u32_e32 v83, 0x800, v49
	v_add_nc_u32_e32 v86, 0xc00, v49
	v_mad_u64_u32 v[48:49], null, s3, v73, v[29:30]
	v_mov_b32_e32 v47, v78
	v_mov_b32_e32 v73, v28
	ds_read2_b32 v[28:29], v31 offset0:16 offset1:96
	ds_read2_b32 v[30:31], v30 offset0:80 offset1:160
	v_lshlrev_b64 v[58:59], 3, v[58:59]
	v_mov_b32_e32 v57, v76
	v_add_nc_u32_e32 v93, 0x370, v46
	v_mad_u64_u32 v[49:50], null, s3, v85, v[47:48]
	ds_read2_b32 v[83:84], v83 offset0:48 offset1:128
	ds_read2_b32 v[85:86], v86 offset0:112 offset1:192
	v_mov_b32_e32 v75, v48
	v_lshlrev_b64 v[47:48], 3, v[60:61]
	v_lshlrev_b64 v[60:61], 3, v[64:65]
	;; [unrolled: 1-line block ×4, first 2 shown]
	v_mov_b32_e32 v78, v49
	v_lshlrev_b64 v[49:50], 3, v[62:63]
	v_lshlrev_b64 v[62:63], 3, v[66:67]
	;; [unrolled: 1-line block ×5, first 2 shown]
	v_add_co_u32 v57, vcc_lo, v87, v58
	v_add_co_ci_u32_e32 v58, vcc_lo, v88, v59, vcc_lo
	v_add_co_u32 v47, vcc_lo, v87, v47
	v_add_co_ci_u32_e32 v48, vcc_lo, v88, v48, vcc_lo
	;; [unrolled: 2-line block ×10, first 2 shown]
	v_mad_u64_u32 v[71:72], null, s2, v93, 0
	s_waitcnt vmcnt(7)
	v_mul_f32_e32 v73, v43, v27
	v_mul_f32_e32 v74, v42, v25
	s_waitcnt lgkmcnt(4)
	v_mul_f32_e32 v27, v80, v27
	v_mul_f32_e32 v25, v79, v25
	v_fmac_f32_e32 v73, v80, v26
	v_fmac_f32_e32 v74, v79, v24
	v_fma_f32 v26, v43, v26, -v27
	v_fma_f32 v24, v42, v24, -v25
	s_waitcnt vmcnt(6)
	v_mul_f32_e32 v25, v41, v23
	v_mul_f32_e32 v27, v40, v21
	s_waitcnt lgkmcnt(3)
	v_mul_f32_e32 v23, v29, v23
	v_mul_f32_e32 v21, v28, v21
	s_waitcnt vmcnt(5) lgkmcnt(2)
	v_mul_f32_e32 v42, v31, v19
	v_mul_f32_e32 v43, v30, v17
	;; [unrolled: 1-line block ×4, first 2 shown]
	v_fmac_f32_e32 v25, v29, v22
	v_fmac_f32_e32 v27, v28, v20
	v_fma_f32 v22, v41, v22, -v23
	v_fma_f32 v20, v40, v20, -v21
	s_waitcnt vmcnt(4)
	v_mul_f32_e32 v21, v37, v15
	v_mul_f32_e32 v23, v36, v13
	s_waitcnt lgkmcnt(1)
	v_mul_f32_e32 v13, v83, v13
	v_mul_f32_e32 v15, v84, v15
	s_waitcnt vmcnt(3)
	v_mul_f32_e32 v28, v91, v11
	v_mul_f32_e32 v11, v52, v11
	v_fma_f32 v29, v39, v18, -v42
	v_fma_f32 v38, v38, v16, -v43
	v_mul_f32_e32 v39, v92, v9
	v_mul_f32_e32 v9, v51, v9
	v_fmac_f32_e32 v19, v18, v31
	v_fmac_f32_e32 v17, v16, v30
	s_waitcnt vmcnt(2)
	v_mul_f32_e32 v16, v82, v3
	s_waitcnt vmcnt(1) lgkmcnt(0)
	v_mul_f32_e32 v18, v86, v7
	v_mul_f32_e32 v30, v85, v5
	v_mul_f32_e32 v31, v89, v1
	s_waitcnt vmcnt(0)
	v_mul_f32_e32 v40, v53, v45
	v_mul_f32_e32 v5, v34, v5
	;; [unrolled: 1-line block ×6, first 2 shown]
	v_fmac_f32_e32 v21, v84, v14
	v_fmac_f32_e32 v23, v83, v12
	v_fma_f32 v12, v36, v12, -v13
	v_fma_f32 v13, v37, v14, -v15
	;; [unrolled: 1-line block ×3, first 2 shown]
	v_fmac_f32_e32 v11, v10, v91
	v_fma_f32 v10, v51, v8, -v39
	v_fmac_f32_e32 v9, v8, v92
	v_fma_f32 v8, v35, v6, -v18
	v_fma_f32 v15, v34, v4, -v30
	v_fma_f32 v18, v54, v0, -v31
	v_fmac_f32_e32 v40, v90, v44
	v_fma_f32 v16, v33, v2, -v16
	v_fma_f32 v28, v53, v44, -v41
	v_fmac_f32_e32 v1, v0, v89
	v_fmac_f32_e32 v5, v4, v85
	;; [unrolled: 1-line block ×4, first 2 shown]
	v_sub_f32_e32 v0, v14, v29
	v_sub_f32_e32 v2, v73, v25
	;; [unrolled: 1-line block ×17, first 2 shown]
	v_add_f32_e32 v29, v6, v4
	v_add_f32_e32 v30, v8, v19
	v_sub_f32_e32 v31, v15, v21
	v_sub_f32_e32 v33, v22, v25
	v_add_f32_e32 v34, v5, v27
	v_add_f32_e32 v35, v17, v20
	v_sub_f32_e32 v36, v13, v7
	v_fma_f32 v14, v14, 2.0, -v0
	v_fma_f32 v4, v26, 2.0, -v4
	;; [unrolled: 1-line block ×16, first 2 shown]
	v_fmamk_f32 v16, v29, 0x3f3504f3, v30
	v_fmamk_f32 v25, v34, 0x3f3504f3, v35
	v_sub_f32_e32 v4, v14, v4
	v_sub_f32_e32 v32, v26, v3
	v_sub_f32_e32 v10, v7, v10
	v_sub_f32_e32 v3, v1, v20
	v_sub_f32_e32 v12, v18, v12
	v_sub_f32_e32 v20, v9, v21
	v_sub_f32_e32 v2, v11, v2
	v_fma_f32 v21, v0, 2.0, -v28
	v_fma_f32 v19, v19, 2.0, -v30
	;; [unrolled: 1-line block ×8, first 2 shown]
	v_fmamk_f32 v24, v31, 0x3f3504f3, v33
	v_fmamk_f32 v27, v28, 0x3f3504f3, v36
	v_sub_f32_e32 v8, v23, v8
	v_fmac_f32_e32 v16, 0x3f3504f3, v28
	v_fmac_f32_e32 v25, 0x3f3504f3, v31
	v_add_f32_e32 v28, v4, v32
	v_add_f32_e32 v31, v12, v20
	v_fmamk_f32 v37, v6, 0xbf3504f3, v19
	v_fmamk_f32 v38, v15, 0xbf3504f3, v22
	;; [unrolled: 1-line block ×4, first 2 shown]
	v_fma_f32 v26, v26, 2.0, -v32
	v_fma_f32 v11, v11, 2.0, -v2
	;; [unrolled: 1-line block ×4, first 2 shown]
	v_fmac_f32_e32 v24, 0xbf3504f3, v34
	v_fmac_f32_e32 v27, 0xbf3504f3, v29
	v_sub_f32_e32 v29, v10, v3
	v_sub_f32_e32 v34, v8, v2
	v_fma_f32 v12, v23, 2.0, -v8
	v_fma_f32 v4, v14, 2.0, -v4
	;; [unrolled: 1-line block ×4, first 2 shown]
	v_fmamk_f32 v1, v25, 0x3f6c835e, v16
	v_fmamk_f32 v3, v31, 0x3f3504f3, v28
	v_fmac_f32_e32 v37, 0x3f3504f3, v21
	v_fmac_f32_e32 v38, 0xbf3504f3, v5
	;; [unrolled: 1-line block ×4, first 2 shown]
	v_sub_f32_e32 v18, v26, v11
	v_sub_f32_e32 v15, v41, v7
	v_fmamk_f32 v0, v24, 0x3f6c835e, v27
	v_fmamk_f32 v2, v29, 0x3f3504f3, v34
	v_sub_f32_e32 v21, v12, v4
	v_sub_f32_e32 v23, v14, v9
	v_fma_f32 v42, v10, 2.0, -v29
	v_fma_f32 v43, v8, 2.0, -v34
	;; [unrolled: 1-line block ×5, first 2 shown]
	v_fmac_f32_e32 v1, 0x3ec3ef15, v24
	v_fmac_f32_e32 v3, 0x3f3504f3, v29
	v_add_f32_e32 v7, v18, v15
	v_fma_f32 v24, v19, 2.0, -v37
	v_fma_f32 v22, v22, 2.0, -v38
	;; [unrolled: 1-line block ×7, first 2 shown]
	v_fmac_f32_e32 v0, 0xbec3ef15, v25
	v_fmac_f32_e32 v2, 0xbf3504f3, v31
	v_sub_f32_e32 v6, v21, v23
	v_fmamk_f32 v10, v42, 0xbf3504f3, v43
	v_fma_f32 v26, v26, 2.0, -v18
	v_fma_f32 v23, v14, 2.0, -v23
	;; [unrolled: 1-line block ×4, first 2 shown]
	v_fmamk_f32 v9, v35, 0xbec3ef15, v30
	v_fma_f32 v17, v18, 2.0, -v7
	v_fmamk_f32 v19, v29, 0xbf6c835e, v24
	v_fmamk_f32 v18, v22, 0xbf6c835e, v44
	;; [unrolled: 1-line block ×6, first 2 shown]
	v_fma_f32 v13, v16, 2.0, -v1
	v_fma_f32 v16, v21, 2.0, -v6
	v_fmac_f32_e32 v10, 0xbf3504f3, v20
	v_sub_f32_e32 v21, v26, v23
	v_sub_f32_e32 v20, v31, v25
	v_fmac_f32_e32 v9, 0x3f6c835e, v33
	v_fmac_f32_e32 v19, 0x3ec3ef15, v22
	v_fmac_f32_e32 v18, 0xbec3ef15, v29
	v_fmac_f32_e32 v11, 0x3f3504f3, v42
	v_fmac_f32_e32 v8, 0xbf6c835e, v35
	v_fmac_f32_e32 v4, 0xbf6c835e, v39
	v_fma_f32 v15, v28, 2.0, -v3
	v_fmac_f32_e32 v5, 0x3f6c835e, v38
	v_fma_f32 v29, v26, 2.0, -v21
	v_fma_f32 v28, v31, 2.0, -v20
	;; [unrolled: 1-line block ×12, first 2 shown]
	global_store_dwordx2 v[57:58], v[28:29], off
	global_store_dwordx2 v[47:48], v[30:31], off
	global_store_dwordx2 v[49:50], v[26:27], off
	global_store_dwordx2 v[59:60], v[24:25], off
	global_store_dwordx2 v[61:62], v[16:17], off
	global_store_dwordx2 v[63:64], v[22:23], off
	global_store_dwordx2 v[65:66], v[14:15], off
	global_store_dwordx2 v[67:68], v[12:13], off
	global_store_dwordx2 v[55:56], v[20:21], off
	v_add_nc_u32_e32 v22, 0x410, v46
	v_add_nc_u32_e32 v21, 0x3c0, v46
	global_store_dwordx2 v[69:70], v[18:19], off
	v_mov_b32_e32 v16, v72
	v_lshlrev_b64 v[12:13], 3, v[77:78]
	v_mad_u64_u32 v[17:18], null, s2, v22, 0
	v_mad_u64_u32 v[14:15], null, s2, v21, 0
	v_add_nc_u32_e32 v25, 0x460, v46
	v_add_co_u32 v12, vcc_lo, v87, v12
	v_add_nc_u32_e32 v26, 0x4b0, v46
	v_mad_u64_u32 v[19:20], null, s3, v93, v[16:17]
	v_mad_u64_u32 v[15:16], null, s3, v21, v[15:16]
	v_mov_b32_e32 v16, v18
	v_mad_u64_u32 v[20:21], null, s2, v25, 0
	v_add_co_ci_u32_e32 v13, vcc_lo, v88, v13, vcc_lo
	v_mov_b32_e32 v72, v19
	v_mad_u64_u32 v[22:23], null, s3, v22, v[16:17]
	v_mad_u64_u32 v[23:24], null, s2, v26, 0
	global_store_dwordx2 v[12:13], v[10:11], off
	v_lshlrev_b64 v[11:12], 3, v[71:72]
	v_mov_b32_e32 v10, v21
	v_lshlrev_b64 v[13:14], 3, v[14:15]
	v_mov_b32_e32 v18, v22
	v_mad_u64_u32 v[21:22], null, s3, v25, v[10:11]
	v_mov_b32_e32 v10, v24
	v_add_co_u32 v11, vcc_lo, v87, v11
	v_add_co_ci_u32_e32 v12, vcc_lo, v88, v12, vcc_lo
	v_add_co_u32 v13, vcc_lo, v87, v13
	v_mad_u64_u32 v[15:16], null, s3, v26, v[10:11]
	v_lshlrev_b64 v[16:17], 3, v[17:18]
	v_lshlrev_b64 v[18:19], 3, v[20:21]
	v_add_co_ci_u32_e32 v14, vcc_lo, v88, v14, vcc_lo
	v_mov_b32_e32 v24, v15
	v_add_co_u32 v15, vcc_lo, v87, v16
	v_add_co_ci_u32_e32 v16, vcc_lo, v88, v17, vcc_lo
	v_lshlrev_b64 v[20:21], 3, v[23:24]
	v_add_co_u32 v17, vcc_lo, v87, v18
	v_add_co_ci_u32_e32 v18, vcc_lo, v88, v19, vcc_lo
	v_add_co_u32 v19, vcc_lo, v87, v20
	v_add_co_ci_u32_e32 v20, vcc_lo, v88, v21, vcc_lo
	global_store_dwordx2 v[11:12], v[8:9], off
	global_store_dwordx2 v[13:14], v[6:7], off
	;; [unrolled: 1-line block ×5, first 2 shown]
.LBB0_23:
	s_endpgm
	.section	.rodata,"a",@progbits
	.p2align	6, 0x0
	.amdhsa_kernel fft_rtc_fwd_len1280_factors_16_5_16_wgs_80_tpt_80_halfLds_sp_op_CI_CI_sbrr_dirReg
		.amdhsa_group_segment_fixed_size 0
		.amdhsa_private_segment_fixed_size 0
		.amdhsa_kernarg_size 104
		.amdhsa_user_sgpr_count 6
		.amdhsa_user_sgpr_private_segment_buffer 1
		.amdhsa_user_sgpr_dispatch_ptr 0
		.amdhsa_user_sgpr_queue_ptr 0
		.amdhsa_user_sgpr_kernarg_segment_ptr 1
		.amdhsa_user_sgpr_dispatch_id 0
		.amdhsa_user_sgpr_flat_scratch_init 0
		.amdhsa_user_sgpr_private_segment_size 0
		.amdhsa_wavefront_size32 1
		.amdhsa_uses_dynamic_stack 0
		.amdhsa_system_sgpr_private_segment_wavefront_offset 0
		.amdhsa_system_sgpr_workgroup_id_x 1
		.amdhsa_system_sgpr_workgroup_id_y 0
		.amdhsa_system_sgpr_workgroup_id_z 0
		.amdhsa_system_sgpr_workgroup_info 0
		.amdhsa_system_vgpr_workitem_id 0
		.amdhsa_next_free_vgpr 94
		.amdhsa_next_free_sgpr 31
		.amdhsa_reserve_vcc 1
		.amdhsa_reserve_flat_scratch 0
		.amdhsa_float_round_mode_32 0
		.amdhsa_float_round_mode_16_64 0
		.amdhsa_float_denorm_mode_32 3
		.amdhsa_float_denorm_mode_16_64 3
		.amdhsa_dx10_clamp 1
		.amdhsa_ieee_mode 1
		.amdhsa_fp16_overflow 0
		.amdhsa_workgroup_processor_mode 1
		.amdhsa_memory_ordered 1
		.amdhsa_forward_progress 0
		.amdhsa_shared_vgpr_count 0
		.amdhsa_exception_fp_ieee_invalid_op 0
		.amdhsa_exception_fp_denorm_src 0
		.amdhsa_exception_fp_ieee_div_zero 0
		.amdhsa_exception_fp_ieee_overflow 0
		.amdhsa_exception_fp_ieee_underflow 0
		.amdhsa_exception_fp_ieee_inexact 0
		.amdhsa_exception_int_div_zero 0
	.end_amdhsa_kernel
	.text
.Lfunc_end0:
	.size	fft_rtc_fwd_len1280_factors_16_5_16_wgs_80_tpt_80_halfLds_sp_op_CI_CI_sbrr_dirReg, .Lfunc_end0-fft_rtc_fwd_len1280_factors_16_5_16_wgs_80_tpt_80_halfLds_sp_op_CI_CI_sbrr_dirReg
                                        ; -- End function
	.section	.AMDGPU.csdata,"",@progbits
; Kernel info:
; codeLenInByte = 8792
; NumSgprs: 33
; NumVgprs: 94
; ScratchSize: 0
; MemoryBound: 0
; FloatMode: 240
; IeeeMode: 1
; LDSByteSize: 0 bytes/workgroup (compile time only)
; SGPRBlocks: 4
; VGPRBlocks: 11
; NumSGPRsForWavesPerEU: 33
; NumVGPRsForWavesPerEU: 94
; Occupancy: 10
; WaveLimiterHint : 1
; COMPUTE_PGM_RSRC2:SCRATCH_EN: 0
; COMPUTE_PGM_RSRC2:USER_SGPR: 6
; COMPUTE_PGM_RSRC2:TRAP_HANDLER: 0
; COMPUTE_PGM_RSRC2:TGID_X_EN: 1
; COMPUTE_PGM_RSRC2:TGID_Y_EN: 0
; COMPUTE_PGM_RSRC2:TGID_Z_EN: 0
; COMPUTE_PGM_RSRC2:TIDIG_COMP_CNT: 0
	.text
	.p2alignl 6, 3214868480
	.fill 48, 4, 3214868480
	.type	__hip_cuid_3ef705f0159af918,@object ; @__hip_cuid_3ef705f0159af918
	.section	.bss,"aw",@nobits
	.globl	__hip_cuid_3ef705f0159af918
__hip_cuid_3ef705f0159af918:
	.byte	0                               ; 0x0
	.size	__hip_cuid_3ef705f0159af918, 1

	.ident	"AMD clang version 19.0.0git (https://github.com/RadeonOpenCompute/llvm-project roc-6.4.0 25133 c7fe45cf4b819c5991fe208aaa96edf142730f1d)"
	.section	".note.GNU-stack","",@progbits
	.addrsig
	.addrsig_sym __hip_cuid_3ef705f0159af918
	.amdgpu_metadata
---
amdhsa.kernels:
  - .args:
      - .actual_access:  read_only
        .address_space:  global
        .offset:         0
        .size:           8
        .value_kind:     global_buffer
      - .offset:         8
        .size:           8
        .value_kind:     by_value
      - .actual_access:  read_only
        .address_space:  global
        .offset:         16
        .size:           8
        .value_kind:     global_buffer
      - .actual_access:  read_only
        .address_space:  global
        .offset:         24
        .size:           8
        .value_kind:     global_buffer
      - .actual_access:  read_only
        .address_space:  global
        .offset:         32
        .size:           8
        .value_kind:     global_buffer
      - .offset:         40
        .size:           8
        .value_kind:     by_value
      - .actual_access:  read_only
        .address_space:  global
        .offset:         48
        .size:           8
        .value_kind:     global_buffer
      - .actual_access:  read_only
        .address_space:  global
        .offset:         56
        .size:           8
        .value_kind:     global_buffer
      - .offset:         64
        .size:           4
        .value_kind:     by_value
      - .actual_access:  read_only
        .address_space:  global
        .offset:         72
        .size:           8
        .value_kind:     global_buffer
      - .actual_access:  read_only
        .address_space:  global
        .offset:         80
        .size:           8
        .value_kind:     global_buffer
      - .actual_access:  read_only
        .address_space:  global
        .offset:         88
        .size:           8
        .value_kind:     global_buffer
      - .actual_access:  write_only
        .address_space:  global
        .offset:         96
        .size:           8
        .value_kind:     global_buffer
    .group_segment_fixed_size: 0
    .kernarg_segment_align: 8
    .kernarg_segment_size: 104
    .language:       OpenCL C
    .language_version:
      - 2
      - 0
    .max_flat_workgroup_size: 80
    .name:           fft_rtc_fwd_len1280_factors_16_5_16_wgs_80_tpt_80_halfLds_sp_op_CI_CI_sbrr_dirReg
    .private_segment_fixed_size: 0
    .sgpr_count:     33
    .sgpr_spill_count: 0
    .symbol:         fft_rtc_fwd_len1280_factors_16_5_16_wgs_80_tpt_80_halfLds_sp_op_CI_CI_sbrr_dirReg.kd
    .uniform_work_group_size: 1
    .uses_dynamic_stack: false
    .vgpr_count:     94
    .vgpr_spill_count: 0
    .wavefront_size: 32
    .workgroup_processor_mode: 1
amdhsa.target:   amdgcn-amd-amdhsa--gfx1030
amdhsa.version:
  - 1
  - 2
...

	.end_amdgpu_metadata
